;; amdgpu-corpus repo=ROCm/rocFFT kind=compiled arch=gfx906 opt=O3
	.text
	.amdgcn_target "amdgcn-amd-amdhsa--gfx906"
	.amdhsa_code_object_version 6
	.protected	fft_rtc_back_len56_factors_7_8_wgs_128_tpt_8_sp_op_CI_CI_sbcr_C2R ; -- Begin function fft_rtc_back_len56_factors_7_8_wgs_128_tpt_8_sp_op_CI_CI_sbcr_C2R
	.globl	fft_rtc_back_len56_factors_7_8_wgs_128_tpt_8_sp_op_CI_CI_sbcr_C2R
	.p2align	8
	.type	fft_rtc_back_len56_factors_7_8_wgs_128_tpt_8_sp_op_CI_CI_sbcr_C2R,@function
fft_rtc_back_len56_factors_7_8_wgs_128_tpt_8_sp_op_CI_CI_sbcr_C2R: ; @fft_rtc_back_len56_factors_7_8_wgs_128_tpt_8_sp_op_CI_CI_sbcr_C2R
; %bb.0:
	s_load_dwordx4 s[0:3], s[4:5], 0x10
	s_load_dwordx2 s[28:29], s[4:5], 0x20
	s_mov_b32 s7, 0
	s_mov_b64 s[24:25], 0
	s_waitcnt lgkmcnt(0)
	s_load_dwordx2 s[26:27], s[0:1], 0x8
	s_waitcnt lgkmcnt(0)
	s_add_u32 s8, s26, -1
	s_addc_u32 s9, s27, -1
	s_lshr_b64 s[8:9], s[8:9], 4
	s_add_u32 s30, s8, 1
	s_addc_u32 s31, s9, 0
	v_mov_b32_e32 v1, s30
	v_mov_b32_e32 v2, s31
	v_cmp_lt_u64_e32 vcc, s[6:7], v[1:2]
	s_cbranch_vccnz .LBB0_2
; %bb.1:
	v_cvt_f32_u32_e32 v1, s30
	s_sub_i32 s8, 0, s30
	s_mov_b32 s25, s7
	v_rcp_iflag_f32_e32 v1, v1
	v_mul_f32_e32 v1, 0x4f7ffffe, v1
	v_cvt_u32_f32_e32 v1, v1
	v_readfirstlane_b32 s9, v1
	s_mul_i32 s8, s8, s9
	s_mul_hi_u32 s8, s9, s8
	s_add_i32 s9, s9, s8
	s_mul_hi_u32 s8, s6, s9
	s_mul_i32 s10, s8, s30
	s_sub_i32 s10, s6, s10
	s_add_i32 s9, s8, 1
	s_sub_i32 s11, s10, s30
	s_cmp_ge_u32 s10, s30
	s_cselect_b32 s8, s9, s8
	s_cselect_b32 s10, s11, s10
	s_add_i32 s9, s8, 1
	s_cmp_ge_u32 s10, s30
	s_cselect_b32 s24, s9, s8
.LBB0_2:
	s_load_dwordx4 s[12:15], s[4:5], 0x58
	s_load_dwordx4 s[16:19], s[4:5], 0x0
	s_load_dwordx4 s[20:23], s[2:3], 0x0
	s_mul_i32 s4, s24, s31
	s_mul_hi_u32 s5, s24, s30
	s_add_i32 s5, s5, s4
	s_mul_i32 s4, s24, s30
	s_sub_u32 s4, s6, s4
	s_subb_u32 s5, 0, s5
	v_mov_b32_e32 v1, s4
	s_load_dwordx4 s[8:11], s[28:29], 0x0
	v_alignbit_b32 v1, s5, v1, 28
	s_waitcnt lgkmcnt(0)
	v_mul_lo_u32 v2, s22, v1
	s_lshl_b64 s[4:5], s[4:5], 4
	s_mul_hi_u32 s33, s22, s4
	v_mul_lo_u32 v1, s10, v1
	v_add_u32_e32 v2, s33, v2
	s_mul_i32 s33, s23, s4
	v_add_u32_e32 v3, s33, v2
	s_mul_i32 s33, s22, s4
	v_mov_b32_e32 v4, s33
	s_mul_hi_u32 s33, s10, s4
	v_add_u32_e32 v1, s33, v1
	s_mul_i32 s33, s11, s4
	v_cmp_lt_u64_e64 s[34:35], s[18:19], 3
	v_add_u32_e32 v18, s33, v1
	s_mul_i32 s33, s10, s4
	v_mov_b32_e32 v19, s33
	s_and_b64 vcc, exec, s[34:35]
	s_cbranch_vccnz .LBB0_11
; %bb.3:
	s_add_u32 s34, s28, 16
	s_addc_u32 s35, s29, 0
	s_add_u32 s36, s2, 16
	s_addc_u32 s37, s3, 0
	s_add_u32 s38, s0, 16
	v_mov_b32_e32 v1, s18
	s_addc_u32 s39, s1, 0
	s_mov_b64 s[40:41], 2
	s_mov_b32 s42, 0
	v_mov_b32_e32 v2, s19
	s_branch .LBB0_5
.LBB0_4:                                ;   in Loop: Header=BB0_5 Depth=1
	s_mul_i32 s31, s44, s31
	s_mul_hi_u32 s33, s44, s30
	s_add_i32 s31, s33, s31
	s_mul_i32 s33, s45, s30
	s_add_i32 s31, s31, s33
	s_mul_i32 s33, s0, s45
	s_mul_hi_u32 s43, s0, s44
	s_load_dwordx2 s[46:47], s[36:37], 0x0
	s_add_i32 s33, s43, s33
	s_mul_i32 s43, s1, s44
	s_add_i32 s33, s33, s43
	s_mul_i32 s43, s0, s44
	s_sub_u32 s43, s24, s43
	s_subb_u32 s33, s25, s33
	s_waitcnt lgkmcnt(0)
	s_mul_i32 s24, s46, s33
	s_mul_hi_u32 s25, s46, s43
	s_add_i32 s24, s25, s24
	s_mul_i32 s25, s47, s43
	s_add_i32 s24, s24, s25
	v_mov_b32_e32 v5, s24
	s_load_dwordx2 s[24:25], s[34:35], 0x0
	s_mul_i32 s30, s44, s30
	s_mul_i32 s44, s46, s43
	v_add_co_u32_e32 v4, vcc, s44, v4
	s_waitcnt lgkmcnt(0)
	s_mul_i32 s33, s24, s33
	s_mul_hi_u32 s44, s24, s43
	s_add_i32 s33, s44, s33
	s_mul_i32 s25, s25, s43
	s_add_i32 s25, s33, s25
	s_add_u32 s40, s40, 1
	s_addc_u32 s41, s41, 0
	v_addc_co_u32_e32 v3, vcc, v5, v3, vcc
	s_mul_i32 s24, s24, s43
	s_add_u32 s34, s34, 8
	v_mov_b32_e32 v5, s25
	v_add_co_u32_e32 v19, vcc, s24, v19
	s_addc_u32 s35, s35, 0
	v_addc_co_u32_e32 v18, vcc, v5, v18, vcc
	s_add_u32 s36, s36, 8
	s_addc_u32 s37, s37, 0
	v_cmp_ge_u64_e32 vcc, s[40:41], v[1:2]
	s_add_u32 s38, s38, 8
	s_addc_u32 s39, s39, 0
	s_mov_b64 s[24:25], s[0:1]
	s_cbranch_vccnz .LBB0_9
.LBB0_5:                                ; =>This Inner Loop Header: Depth=1
	s_load_dwordx2 s[44:45], s[38:39], 0x0
	s_waitcnt lgkmcnt(0)
	s_or_b64 s[0:1], s[24:25], s[44:45]
	s_mov_b32 s43, s1
	s_cmp_lg_u64 s[42:43], 0
	s_cbranch_scc0 .LBB0_7
; %bb.6:                                ;   in Loop: Header=BB0_5 Depth=1
	v_cvt_f32_u32_e32 v5, s44
	v_cvt_f32_u32_e32 v6, s45
	s_sub_u32 s0, 0, s44
	s_subb_u32 s1, 0, s45
	v_mac_f32_e32 v5, 0x4f800000, v6
	v_rcp_f32_e32 v5, v5
	v_mul_f32_e32 v5, 0x5f7ffffc, v5
	v_mul_f32_e32 v6, 0x2f800000, v5
	v_trunc_f32_e32 v6, v6
	v_mac_f32_e32 v5, 0xcf800000, v6
	v_cvt_u32_f32_e32 v6, v6
	v_cvt_u32_f32_e32 v5, v5
	v_readfirstlane_b32 s33, v6
	v_readfirstlane_b32 s43, v5
	s_mul_i32 s46, s0, s33
	s_mul_hi_u32 s48, s0, s43
	s_mul_i32 s47, s1, s43
	s_add_i32 s46, s48, s46
	s_mul_i32 s49, s0, s43
	s_add_i32 s46, s46, s47
	s_mul_hi_u32 s47, s43, s46
	s_mul_i32 s48, s43, s46
	s_mul_hi_u32 s43, s43, s49
	s_add_u32 s43, s43, s48
	s_addc_u32 s47, 0, s47
	s_mul_hi_u32 s50, s33, s49
	s_mul_i32 s49, s33, s49
	s_add_u32 s43, s43, s49
	s_mul_hi_u32 s48, s33, s46
	s_addc_u32 s43, s47, s50
	s_addc_u32 s47, s48, 0
	s_mul_i32 s46, s33, s46
	s_add_u32 s43, s43, s46
	s_addc_u32 s46, 0, s47
	v_add_co_u32_e32 v5, vcc, s43, v5
	s_cmp_lg_u64 vcc, 0
	s_addc_u32 s33, s33, s46
	v_readfirstlane_b32 s46, v5
	s_mul_i32 s43, s0, s33
	s_mul_hi_u32 s47, s0, s46
	s_add_i32 s43, s47, s43
	s_mul_i32 s1, s1, s46
	s_add_i32 s43, s43, s1
	s_mul_i32 s0, s0, s46
	s_mul_hi_u32 s47, s33, s0
	s_mul_i32 s48, s33, s0
	s_mul_i32 s50, s46, s43
	s_mul_hi_u32 s0, s46, s0
	s_mul_hi_u32 s49, s46, s43
	s_add_u32 s0, s0, s50
	s_addc_u32 s46, 0, s49
	s_add_u32 s0, s0, s48
	s_mul_hi_u32 s1, s33, s43
	s_addc_u32 s0, s46, s47
	s_addc_u32 s1, s1, 0
	s_mul_i32 s43, s33, s43
	s_add_u32 s0, s0, s43
	s_addc_u32 s1, 0, s1
	v_add_co_u32_e32 v5, vcc, s0, v5
	s_cmp_lg_u64 vcc, 0
	s_addc_u32 s0, s33, s1
	v_readfirstlane_b32 s43, v5
	s_mul_i32 s33, s24, s0
	s_mul_hi_u32 s46, s24, s43
	s_mul_hi_u32 s1, s24, s0
	s_add_u32 s33, s46, s33
	s_addc_u32 s1, 0, s1
	s_mul_hi_u32 s47, s25, s43
	s_mul_i32 s43, s25, s43
	s_add_u32 s33, s33, s43
	s_mul_hi_u32 s46, s25, s0
	s_addc_u32 s1, s1, s47
	s_addc_u32 s33, s46, 0
	s_mul_i32 s0, s25, s0
	s_add_u32 s43, s1, s0
	s_addc_u32 s33, 0, s33
	s_mul_i32 s0, s44, s33
	s_mul_hi_u32 s1, s44, s43
	s_add_i32 s0, s1, s0
	s_mul_i32 s1, s45, s43
	s_add_i32 s46, s0, s1
	s_mul_i32 s1, s44, s43
	v_mov_b32_e32 v5, s1
	s_sub_i32 s0, s25, s46
	v_sub_co_u32_e32 v5, vcc, s24, v5
	s_cmp_lg_u64 vcc, 0
	s_subb_u32 s47, s0, s45
	v_subrev_co_u32_e64 v6, s[0:1], s44, v5
	s_cmp_lg_u64 s[0:1], 0
	s_subb_u32 s0, s47, 0
	s_cmp_ge_u32 s0, s45
	v_readfirstlane_b32 s47, v6
	s_cselect_b32 s1, -1, 0
	s_cmp_ge_u32 s47, s44
	s_cselect_b32 s47, -1, 0
	s_cmp_eq_u32 s0, s45
	s_cselect_b32 s0, s47, s1
	s_add_u32 s1, s43, 1
	s_addc_u32 s47, s33, 0
	s_add_u32 s48, s43, 2
	s_addc_u32 s49, s33, 0
	s_cmp_lg_u32 s0, 0
	s_cselect_b32 s0, s48, s1
	s_cselect_b32 s1, s49, s47
	s_cmp_lg_u64 vcc, 0
	s_subb_u32 s46, s25, s46
	s_cmp_ge_u32 s46, s45
	v_readfirstlane_b32 s48, v5
	s_cselect_b32 s47, -1, 0
	s_cmp_ge_u32 s48, s44
	s_cselect_b32 s48, -1, 0
	s_cmp_eq_u32 s46, s45
	s_cselect_b32 s46, s48, s47
	s_cmp_lg_u32 s46, 0
	s_cselect_b32 s1, s1, s33
	s_cselect_b32 s0, s0, s43
	s_cbranch_execnz .LBB0_4
	s_branch .LBB0_8
.LBB0_7:                                ;   in Loop: Header=BB0_5 Depth=1
                                        ; implicit-def: $sgpr0_sgpr1
.LBB0_8:                                ;   in Loop: Header=BB0_5 Depth=1
	v_cvt_f32_u32_e32 v5, s44
	s_sub_i32 s0, 0, s44
	v_rcp_iflag_f32_e32 v5, v5
	v_mul_f32_e32 v5, 0x4f7ffffe, v5
	v_cvt_u32_f32_e32 v5, v5
	v_readfirstlane_b32 s1, v5
	s_mul_i32 s0, s0, s1
	s_mul_hi_u32 s0, s1, s0
	s_add_i32 s1, s1, s0
	s_mul_hi_u32 s0, s24, s1
	s_mul_i32 s33, s0, s44
	s_sub_i32 s33, s24, s33
	s_add_i32 s1, s0, 1
	s_sub_i32 s43, s33, s44
	s_cmp_ge_u32 s33, s44
	s_cselect_b32 s0, s1, s0
	s_cselect_b32 s33, s43, s33
	s_add_i32 s1, s0, 1
	s_cmp_ge_u32 s33, s44
	s_cselect_b32 s0, s1, s0
	s_mov_b32 s1, s42
	s_branch .LBB0_4
.LBB0_9:
	v_mov_b32_e32 v1, s30
	v_mov_b32_e32 v2, s31
	v_cmp_lt_u64_e32 vcc, s[6:7], v[1:2]
	s_mov_b64 s[24:25], 0
	s_cbranch_vccnz .LBB0_11
; %bb.10:
	v_cvt_f32_u32_e32 v1, s30
	s_sub_i32 s0, 0, s30
	v_rcp_iflag_f32_e32 v1, v1
	v_mul_f32_e32 v1, 0x4f7ffffe, v1
	v_cvt_u32_f32_e32 v1, v1
	v_readfirstlane_b32 s1, v1
	s_mul_i32 s0, s0, s1
	s_mul_hi_u32 s0, s1, s0
	s_add_i32 s1, s1, s0
	s_mul_hi_u32 s0, s6, s1
	s_mul_i32 s7, s0, s30
	s_sub_i32 s6, s6, s7
	s_add_i32 s1, s0, 1
	s_sub_i32 s7, s6, s30
	s_cmp_ge_u32 s6, s30
	s_cselect_b32 s0, s1, s0
	s_cselect_b32 s6, s7, s6
	s_add_i32 s1, s0, 1
	s_cmp_ge_u32 s6, s30
	s_cselect_b32 s24, s1, s0
.LBB0_11:
	s_lshl_b64 s[0:1], s[18:19], 3
	s_add_u32 s2, s2, s0
	s_addc_u32 s3, s3, s1
	s_load_dwordx2 s[2:3], s[2:3], 0x0
	v_lshrrev_b32_e32 v7, 4, v0
	v_and_b32_e32 v8, 15, v0
	s_waitcnt lgkmcnt(0)
	s_mul_i32 s3, s3, s24
	s_mul_hi_u32 s6, s2, s24
	s_add_i32 s3, s6, s3
	s_mul_i32 s2, s2, s24
	s_add_u32 s0, s28, s0
	v_mov_b32_e32 v2, s3
	v_add_co_u32_e32 v1, vcc, s2, v4
	s_addc_u32 s1, s29, s1
	v_addc_co_u32_e32 v2, vcc, v2, v3, vcc
	s_load_dwordx2 s[6:7], s[0:1], 0x0
	s_add_u32 s18, s4, 16
	v_mov_b32_e32 v3, s26
	s_addc_u32 s19, s5, 0
	v_mov_b32_e32 v4, s27
	v_cmp_le_u64_e64 s[0:1], s[18:19], v[3:4]
	s_and_b64 vcc, exec, s[0:1]
	s_cbranch_vccz .LBB0_15
; %bb.12:
	v_mad_u64_u32 v[3:4], s[2:3], s22, v8, 0
	v_mad_u64_u32 v[5:6], s[2:3], s20, v7, 0
	v_or_b32_e32 v13, 8, v7
	v_or_b32_e32 v15, 24, v7
	v_mad_u64_u32 v[9:10], s[2:3], s23, v8, v[4:5]
	v_mov_b32_e32 v4, v6
	v_mad_u64_u32 v[10:11], s[2:3], s21, v7, v[4:5]
	v_mov_b32_e32 v4, v9
	v_mov_b32_e32 v11, s13
	;; [unrolled: 1-line block ×3, first 2 shown]
	v_lshlrev_b64 v[9:10], 3, v[1:2]
	v_lshlrev_b64 v[3:4], 3, v[3:4]
	v_add_co_u32_e32 v12, vcc, s12, v9
	v_addc_co_u32_e32 v11, vcc, v11, v10, vcc
	v_mad_u64_u32 v[9:10], s[2:3], s20, v13, 0
	v_add_co_u32_e32 v3, vcc, v12, v3
	v_addc_co_u32_e32 v4, vcc, v11, v4, vcc
	v_mad_u64_u32 v[10:11], s[2:3], s21, v13, v[10:11]
	v_or_b32_e32 v13, 16, v7
	v_mad_u64_u32 v[11:12], s[2:3], s20, v13, 0
	v_or_b32_e32 v17, 32, v7
	v_lshlrev_b64 v[5:6], 3, v[5:6]
	v_mad_u64_u32 v[12:13], s[2:3], s21, v13, v[12:13]
	v_mad_u64_u32 v[13:14], s[2:3], s20, v15, 0
	v_add_co_u32_e32 v5, vcc, v3, v5
	v_mad_u64_u32 v[14:15], s[2:3], s21, v15, v[14:15]
	v_mad_u64_u32 v[15:16], s[2:3], s20, v17, 0
	v_lshlrev_b64 v[9:10], 3, v[9:10]
	v_addc_co_u32_e32 v6, vcc, v4, v6, vcc
	v_mad_u64_u32 v[16:17], s[2:3], s21, v17, v[16:17]
	v_add_co_u32_e32 v9, vcc, v3, v9
	v_lshlrev_b64 v[11:12], 3, v[11:12]
	v_or_b32_e32 v17, 40, v7
	v_addc_co_u32_e32 v10, vcc, v4, v10, vcc
	v_mad_u64_u32 v[20:21], s[2:3], s20, v17, 0
	v_add_co_u32_e32 v11, vcc, v3, v11
	v_lshlrev_b64 v[13:14], 3, v[13:14]
	v_addc_co_u32_e32 v12, vcc, v4, v12, vcc
	v_add_co_u32_e32 v13, vcc, v3, v13
	v_addc_co_u32_e32 v14, vcc, v4, v14, vcc
	global_load_dwordx2 v[22:23], v[5:6], off
	global_load_dwordx2 v[24:25], v[9:10], off
	;; [unrolled: 1-line block ×4, first 2 shown]
	v_mov_b32_e32 v9, v21
	v_mad_u64_u32 v[9:10], s[2:3], s21, v17, v[9:10]
	v_or_b32_e32 v14, 48, v7
	v_mad_u64_u32 v[10:11], s[2:3], s20, v14, 0
	v_mov_b32_e32 v21, v9
	v_lshlrev_b64 v[5:6], 3, v[15:16]
	v_mov_b32_e32 v9, v11
	v_mad_u64_u32 v[14:15], s[2:3], s21, v14, v[9:10]
	v_add_co_u32_e32 v5, vcc, v3, v5
	v_lshlrev_b64 v[12:13], 3, v[20:21]
	v_addc_co_u32_e32 v6, vcc, v4, v6, vcc
	v_mov_b32_e32 v11, v14
	v_add_co_u32_e32 v12, vcc, v3, v12
	v_lshlrev_b64 v[9:10], 3, v[10:11]
	v_addc_co_u32_e32 v13, vcc, v4, v13, vcc
	v_add_co_u32_e32 v9, vcc, v3, v9
	v_addc_co_u32_e32 v10, vcc, v4, v10, vcc
	global_load_dwordx2 v[14:15], v[5:6], off
	global_load_dwordx2 v[16:17], v[12:13], off
	;; [unrolled: 1-line block ×3, first 2 shown]
	s_movk_i32 s2, 0x1c8
	v_mad_u32_u24 v10, v8, s2, 0
	v_lshl_add_u32 v5, v7, 3, v10
	v_cmp_gt_u32_e32 vcc, 16, v0
	s_mov_b64 s[2:3], 0
	s_mov_b64 s[28:29], 0
	s_waitcnt vmcnt(5)
	ds_write2_b64 v5, v[22:23], v[24:25] offset1:8
	s_waitcnt vmcnt(3)
	ds_write2_b64 v5, v[26:27], v[28:29] offset0:16 offset1:24
	s_waitcnt vmcnt(1)
	ds_write2_b64 v5, v[14:15], v[16:17] offset0:32 offset1:40
	s_waitcnt vmcnt(0)
	ds_write_b64 v5, v[20:21] offset:384
                                        ; implicit-def: $vgpr5_vgpr6
	s_and_saveexec_b64 s[30:31], vcc
; %bb.13:
	v_mov_b32_e32 v5, 0x1c0
	v_mad_u64_u32 v[5:6], s[34:35], s20, v5, v[3:4]
	s_mul_i32 s25, s21, 0x1c0
	s_mov_b64 s[28:29], exec
	v_add_u32_e32 v6, s25, v6
; %bb.14:
	s_or_b64 exec, exec, s[30:31]
	s_and_b64 vcc, exec, s[2:3]
	s_cbranch_vccnz .LBB0_16
	s_branch .LBB0_24
.LBB0_15:
	s_mov_b64 s[28:29], 0
                                        ; implicit-def: $vgpr10
                                        ; implicit-def: $vgpr5_vgpr6
	s_cbranch_execz .LBB0_24
.LBB0_16:
	v_mov_b32_e32 v4, s5
	v_or_b32_e32 v3, s4, v8
	v_cmp_gt_u64_e32 vcc, s[26:27], v[3:4]
                                        ; implicit-def: $vgpr10
                                        ; implicit-def: $vgpr5_vgpr6
	s_and_saveexec_b64 s[30:31], vcc
	s_cbranch_execz .LBB0_23
; %bb.17:
	v_mad_u64_u32 v[3:4], s[2:3], s22, v8, 0
	v_mad_u64_u32 v[5:6], s[2:3], s20, v7, 0
	v_lshlrev_b64 v[1:2], 3, v[1:2]
	v_or_b32_e32 v13, 8, v7
	v_mad_u64_u32 v[9:10], s[2:3], s23, v8, v[4:5]
	v_mov_b32_e32 v4, v6
	v_mad_u64_u32 v[10:11], s[2:3], s21, v7, v[4:5]
	v_mov_b32_e32 v4, v9
	v_mov_b32_e32 v9, s13
	;; [unrolled: 1-line block ×3, first 2 shown]
	v_mad_u64_u32 v[10:11], s[2:3], s20, v13, 0
	v_add_co_u32_e32 v12, vcc, s12, v1
	v_addc_co_u32_e32 v9, vcc, v9, v2, vcc
	v_lshlrev_b64 v[1:2], 3, v[3:4]
	v_mov_b32_e32 v3, v11
	v_add_co_u32_e32 v4, vcc, v12, v1
	v_or_b32_e32 v14, 16, v7
	v_addc_co_u32_e32 v9, vcc, v9, v2, vcc
	v_lshlrev_b64 v[1:2], 3, v[5:6]
	v_mad_u64_u32 v[5:6], s[2:3], s21, v13, v[3:4]
	v_mad_u64_u32 v[12:13], s[2:3], s20, v14, 0
	v_mov_b32_e32 v11, v5
	v_or_b32_e32 v16, 24, v7
	v_mov_b32_e32 v3, v13
	v_lshlrev_b64 v[5:6], 3, v[10:11]
	v_mad_u64_u32 v[10:11], s[2:3], s21, v14, v[3:4]
	v_mad_u64_u32 v[14:15], s[2:3], s20, v16, 0
	v_mov_b32_e32 v13, v10
	v_lshlrev_b64 v[10:11], 3, v[12:13]
	v_mov_b32_e32 v3, v15
	v_mad_u64_u32 v[12:13], s[2:3], s21, v16, v[3:4]
	v_or_b32_e32 v16, 32, v7
	v_add_co_u32_e32 v1, vcc, v4, v1
	v_mov_b32_e32 v15, v12
	v_lshlrev_b64 v[12:13], 3, v[14:15]
	v_mad_u64_u32 v[14:15], s[2:3], s20, v16, 0
	v_addc_co_u32_e32 v2, vcc, v9, v2, vcc
	v_add_co_u32_e32 v5, vcc, v4, v5
	v_mov_b32_e32 v3, v15
	v_addc_co_u32_e32 v6, vcc, v9, v6, vcc
	v_mad_u64_u32 v[15:16], s[2:3], s21, v16, v[3:4]
	v_or_b32_e32 v28, 40, v7
	v_add_co_u32_e32 v10, vcc, v4, v10
	v_mad_u64_u32 v[16:17], s[2:3], s20, v28, 0
	v_addc_co_u32_e32 v11, vcc, v9, v11, vcc
	v_add_co_u32_e32 v12, vcc, v4, v12
	v_addc_co_u32_e32 v13, vcc, v9, v13, vcc
	global_load_dwordx2 v[20:21], v[1:2], off
	global_load_dwordx2 v[22:23], v[5:6], off
	;; [unrolled: 1-line block ×4, first 2 shown]
	v_or_b32_e32 v12, 48, v7
	v_mov_b32_e32 v3, v17
	v_mad_u64_u32 v[10:11], s[2:3], s20, v12, 0
	v_mad_u64_u32 v[5:6], s[2:3], s21, v28, v[3:4]
	v_lshlrev_b64 v[1:2], 3, v[14:15]
	v_mov_b32_e32 v3, v11
	v_mov_b32_e32 v17, v5
	v_mad_u64_u32 v[11:12], s[2:3], s21, v12, v[3:4]
	v_add_co_u32_e32 v1, vcc, v4, v1
	v_lshlrev_b64 v[5:6], 3, v[16:17]
	v_addc_co_u32_e32 v2, vcc, v9, v2, vcc
	v_add_co_u32_e32 v5, vcc, v4, v5
	v_addc_co_u32_e32 v6, vcc, v9, v6, vcc
	global_load_dwordx2 v[12:13], v[1:2], off
	global_load_dwordx2 v[14:15], v[5:6], off
	v_lshlrev_b64 v[1:2], 3, v[10:11]
	s_movk_i32 s3, 0x1c8
	v_add_co_u32_e32 v1, vcc, v4, v1
	v_addc_co_u32_e32 v2, vcc, v9, v2, vcc
	global_load_dwordx2 v[1:2], v[1:2], off
	s_or_b64 s[4:5], s[18:19], s[26:27]
	s_mov_b32 s2, 0
	v_mad_u32_u24 v10, v8, s3, 0
	s_mov_b32 s3, s5
	v_lshl_add_u32 v3, v7, 3, v10
	s_cmp_lg_u64 s[2:3], 0
	s_waitcnt vmcnt(5)
	ds_write2_b64 v3, v[20:21], v[22:23] offset1:8
	s_waitcnt vmcnt(3)
	ds_write2_b64 v3, v[24:25], v[26:27] offset0:16 offset1:24
	s_waitcnt vmcnt(1)
	ds_write2_b64 v3, v[12:13], v[14:15] offset0:32 offset1:40
	s_waitcnt vmcnt(0)
	ds_write_b64 v3, v[1:2] offset:384
	s_cbranch_scc0 .LBB0_43
; %bb.18:
	v_cvt_f32_u32_e32 v1, s26
	v_cvt_f32_u32_e32 v2, s27
	s_sub_u32 s2, 0, s26
	s_subb_u32 s3, 0, s27
	v_madmk_f32 v1, v2, 0x4f800000, v1
	v_rcp_f32_e32 v1, v1
	v_mul_f32_e32 v1, 0x5f7ffffc, v1
	v_mul_f32_e32 v2, 0x2f800000, v1
	v_trunc_f32_e32 v2, v2
	v_madmk_f32 v1, v2, 0xcf800000, v1
	v_cvt_u32_f32_e32 v2, v2
	v_cvt_u32_f32_e32 v1, v1
	v_readfirstlane_b32 s4, v2
	v_readfirstlane_b32 s5, v1
	s_mul_i32 s22, s2, s4
	s_mul_hi_u32 s25, s2, s5
	s_mul_i32 s23, s3, s5
	s_add_i32 s22, s25, s22
	s_add_i32 s22, s22, s23
	s_mul_i32 s33, s2, s5
	s_mul_hi_u32 s23, s5, s22
	s_mul_i32 s25, s5, s22
	s_mul_hi_u32 s5, s5, s33
	s_add_u32 s5, s5, s25
	s_addc_u32 s23, 0, s23
	s_mul_hi_u32 s34, s4, s33
	s_mul_i32 s33, s4, s33
	s_add_u32 s5, s5, s33
	s_mul_hi_u32 s25, s4, s22
	s_addc_u32 s5, s23, s34
	s_addc_u32 s23, s25, 0
	s_mul_i32 s22, s4, s22
	s_add_u32 s5, s5, s22
	s_addc_u32 s22, 0, s23
	v_add_co_u32_e32 v1, vcc, s5, v1
	s_cmp_lg_u64 vcc, 0
	s_addc_u32 s4, s4, s22
	v_readfirstlane_b32 s22, v1
	s_mul_i32 s5, s2, s4
	s_mul_hi_u32 s23, s2, s22
	s_add_i32 s5, s23, s5
	s_mul_i32 s3, s3, s22
	s_add_i32 s5, s5, s3
	s_mul_i32 s2, s2, s22
	s_mul_hi_u32 s23, s4, s2
	s_mul_i32 s25, s4, s2
	s_mul_i32 s34, s22, s5
	s_mul_hi_u32 s2, s22, s2
	s_mul_hi_u32 s33, s22, s5
	s_add_u32 s2, s2, s34
	s_addc_u32 s22, 0, s33
	s_add_u32 s2, s2, s25
	s_mul_hi_u32 s3, s4, s5
	s_addc_u32 s2, s22, s23
	s_addc_u32 s3, s3, 0
	s_mul_i32 s5, s4, s5
	s_add_u32 s2, s2, s5
	s_addc_u32 s3, 0, s3
	v_add_co_u32_e32 v1, vcc, s2, v1
	s_cmp_lg_u64 vcc, 0
	s_addc_u32 s2, s4, s3
	v_readfirstlane_b32 s5, v1
	s_mul_i32 s4, s18, s2
	s_mul_hi_u32 s22, s18, s5
	s_mul_hi_u32 s3, s18, s2
	s_add_u32 s4, s22, s4
	s_addc_u32 s3, 0, s3
	s_mul_hi_u32 s23, s19, s5
	s_mul_i32 s5, s19, s5
	s_add_u32 s4, s4, s5
	s_mul_hi_u32 s22, s19, s2
	s_addc_u32 s3, s3, s23
	s_addc_u32 s4, s22, 0
	s_mul_i32 s2, s19, s2
	s_add_u32 s2, s3, s2
	s_addc_u32 s3, 0, s4
	s_mul_i32 s3, s26, s3
	s_mul_hi_u32 s4, s26, s2
	s_add_i32 s3, s4, s3
	s_mul_i32 s4, s27, s2
	s_mul_i32 s2, s26, s2
	s_add_i32 s22, s3, s4
	v_mov_b32_e32 v1, s2
	s_sub_i32 s3, s19, s22
	v_sub_co_u32_e32 v1, vcc, s18, v1
	s_cmp_lg_u64 vcc, 0
	s_subb_u32 s23, s3, s27
	v_subrev_co_u32_e64 v2, s[2:3], s26, v1
	s_cmp_lg_u64 s[2:3], 0
	s_subb_u32 s25, s23, 0
	s_cmp_ge_u32 s25, s27
	s_cselect_b32 s33, -1, 0
	v_cmp_le_u32_e64 s[4:5], s26, v2
	s_cmp_eq_u32 s25, s27
	v_cndmask_b32_e64 v3, 0, -1, s[4:5]
	v_mov_b32_e32 v5, s33
	s_cselect_b64 s[4:5], -1, 0
	s_cmp_lg_u64 s[2:3], 0
	v_cndmask_b32_e64 v3, v5, v3, s[4:5]
	s_subb_u32 s4, s23, s27
	v_subrev_co_u32_e64 v5, s[2:3], s26, v2
	s_cmp_lg_u64 s[2:3], 0
	s_subb_u32 s4, s4, 0
	v_cmp_ne_u32_e64 s[2:3], 0, v3
	v_cndmask_b32_e64 v2, v2, v5, s[2:3]
	v_mov_b32_e32 v3, s25
	v_mov_b32_e32 v5, s4
	s_cmp_lg_u64 vcc, 0
	v_cndmask_b32_e64 v3, v3, v5, s[2:3]
	s_subb_u32 s2, s19, s22
	s_cmp_ge_u32 s2, s27
	s_cselect_b32 s3, -1, 0
	v_cmp_le_u32_e32 vcc, s26, v1
	s_cmp_eq_u32 s2, s27
	v_cndmask_b32_e64 v5, 0, -1, vcc
	v_mov_b32_e32 v6, s3
	s_cselect_b64 vcc, -1, 0
	v_cndmask_b32_e32 v5, v6, v5, vcc
	v_mov_b32_e32 v6, s2
	v_cmp_ne_u32_e32 vcc, 0, v5
	v_cndmask_b32_e32 v3, v6, v3, vcc
	v_cndmask_b32_e32 v2, v1, v2, vcc
	s_cbranch_execnz .LBB0_20
.LBB0_19:
	v_cvt_f32_u32_e32 v1, s26
	s_sub_i32 s2, 0, s26
	v_mov_b32_e32 v3, 0
	v_rcp_iflag_f32_e32 v1, v1
	v_mul_f32_e32 v1, 0x4f7ffffe, v1
	v_cvt_u32_f32_e32 v1, v1
	v_mul_lo_u32 v2, s2, v1
	v_mul_hi_u32 v2, v1, v2
	v_add_u32_e32 v1, v1, v2
	v_mul_hi_u32 v1, s18, v1
	v_mul_lo_u32 v1, v1, s26
	v_sub_u32_e32 v1, s18, v1
	v_subrev_u32_e32 v2, s26, v1
	v_cmp_le_u32_e32 vcc, s26, v1
	v_cndmask_b32_e32 v1, v1, v2, vcc
	v_subrev_u32_e32 v2, s26, v1
	v_cmp_le_u32_e32 vcc, s26, v1
	v_cndmask_b32_e32 v2, v1, v2, vcc
.LBB0_20:
	v_sub_co_u32_e32 v2, vcc, 16, v2
	v_mov_b32_e32 v1, 0
	v_subb_co_u32_e32 v3, vcc, 0, v3, vcc
	v_cmp_gt_u64_e32 vcc, v[2:3], v[0:1]
	s_mov_b64 s[4:5], s[28:29]
                                        ; implicit-def: $vgpr5_vgpr6
	s_and_saveexec_b64 s[2:3], vcc
; %bb.21:
	v_or_b32_e32 v3, 56, v7
	v_mad_u64_u32 v[1:2], s[4:5], s20, v3, 0
	v_mad_u64_u32 v[2:3], s[4:5], s21, v3, v[2:3]
	s_or_b64 s[4:5], s[28:29], exec
	v_lshlrev_b64 v[1:2], 3, v[1:2]
	v_add_co_u32_e32 v5, vcc, v4, v1
	v_addc_co_u32_e32 v6, vcc, v9, v2, vcc
; %bb.22:
	s_or_b64 exec, exec, s[2:3]
	s_andn2_b64 s[2:3], s[28:29], exec
	s_and_b64 s[4:5], s[4:5], exec
	s_or_b64 s[28:29], s[2:3], s[4:5]
.LBB0_23:
	s_or_b64 exec, exec, s[30:31]
.LBB0_24:
	s_and_saveexec_b64 s[2:3], s[28:29]
	s_cbranch_execz .LBB0_26
; %bb.25:
	global_load_dwordx2 v[1:2], v[5:6], off
	s_waitcnt vmcnt(0)
	ds_write2_b32 v10, v1, v2 offset0:112 offset1:113
.LBB0_26:
	s_or_b64 exec, exec, s[2:3]
	v_lshrrev_b32_e32 v1, 3, v0
	v_mul_u32_u24_e32 v7, 57, v1
	v_and_b32_e32 v5, 7, v0
	v_lshl_add_u32 v6, v7, 3, 0
	v_lshlrev_b32_e32 v8, 3, v5
	v_add_u32_e32 v20, v6, v8
	s_waitcnt lgkmcnt(0)
	s_barrier
	v_sub_u32_e32 v9, v6, v8
	ds_read_b32 v10, v20
	ds_read_b32 v11, v9 offset:448
	v_cmp_ne_u32_e32 vcc, 0, v5
                                        ; implicit-def: $vgpr3_vgpr4
	s_waitcnt lgkmcnt(0)
	v_add_f32_e32 v1, v11, v10
	v_sub_f32_e32 v2, v10, v11
	s_and_saveexec_b64 s[2:3], vcc
	s_xor_b64 s[2:3], exec, s[2:3]
	s_cbranch_execz .LBB0_28
; %bb.27:
	global_load_dwordx2 v[3:4], v8, s[16:17] offset:392
	ds_read_b32 v1, v9 offset:452
	ds_read_b32 v2, v20 offset:4
	v_add_f32_e32 v12, v11, v10
	v_sub_f32_e32 v13, v10, v11
	v_mov_b32_e32 v6, 0
	s_waitcnt lgkmcnt(0)
	v_add_f32_e32 v14, v1, v2
	v_sub_f32_e32 v1, v2, v1
	s_waitcnt vmcnt(0)
	v_fma_f32 v15, v13, v4, v12
	v_fma_f32 v2, v14, v4, v1
	v_fma_f32 v10, -v13, v4, v12
	v_fma_f32 v11, v14, v4, -v1
	v_fma_f32 v1, -v3, v14, v15
	v_fmac_f32_e32 v2, v13, v3
	v_fmac_f32_e32 v10, v3, v14
	;; [unrolled: 1-line block ×3, first 2 shown]
	v_mov_b32_e32 v3, v5
	ds_write_b64 v9, v[10:11] offset:448
	v_mov_b32_e32 v4, v6
                                        ; implicit-def: $vgpr6
.LBB0_28:
	s_andn2_saveexec_b64 s[2:3], s[2:3]
	s_cbranch_execz .LBB0_30
; %bb.29:
	ds_read_b64 v[3:4], v6 offset:224
	s_waitcnt lgkmcnt(0)
	v_add_f32_e32 v10, v3, v3
	v_mul_f32_e32 v11, -2.0, v4
	v_mov_b32_e32 v3, 0
	v_mov_b32_e32 v4, 0
	ds_write_b64 v6, v[10:11] offset:224
.LBB0_30:
	s_or_b64 exec, exec, s[2:3]
	s_add_u32 s2, s16, 0x188
	v_lshlrev_b64 v[3:4], 3, v[3:4]
	s_addc_u32 s3, s17, 0
	v_mov_b32_e32 v6, s3
	v_add_co_u32_e32 v3, vcc, s2, v3
	v_addc_co_u32_e32 v4, vcc, v6, v4, vcc
	global_load_dwordx2 v[10:11], v[3:4], off offset:64
	global_load_dwordx2 v[12:13], v[3:4], off offset:128
	ds_write_b64 v20, v[1:2]
	ds_read_b64 v[1:2], v20 offset:64
	ds_read_b64 v[14:15], v9 offset:384
	s_waitcnt lgkmcnt(0)
	v_add_f32_e32 v6, v1, v14
	v_add_f32_e32 v16, v15, v2
	v_sub_f32_e32 v17, v1, v14
	v_sub_f32_e32 v1, v2, v15
	s_waitcnt vmcnt(1)
	v_fma_f32 v21, v17, v11, v6
	v_fma_f32 v2, v16, v11, v1
	v_fma_f32 v14, -v17, v11, v6
	v_fma_f32 v15, v16, v11, -v1
	v_fma_f32 v1, -v10, v16, v21
	v_fmac_f32_e32 v2, v17, v10
	v_fmac_f32_e32 v14, v10, v16
	;; [unrolled: 1-line block ×3, first 2 shown]
	ds_write_b64 v20, v[1:2] offset:64
	ds_write_b64 v9, v[14:15] offset:384
	ds_read_b64 v[1:2], v20 offset:128
	ds_read_b64 v[10:11], v9 offset:320
	v_or_b32_e32 v6, 24, v5
	v_cmp_gt_u32_e32 vcc, 28, v6
	s_waitcnt lgkmcnt(0)
	v_add_f32_e32 v14, v1, v10
	v_add_f32_e32 v15, v11, v2
	v_sub_f32_e32 v16, v1, v10
	v_sub_f32_e32 v1, v2, v11
	s_waitcnt vmcnt(0)
	v_fma_f32 v17, v16, v13, v14
	v_fma_f32 v2, v15, v13, v1
	v_fma_f32 v10, -v16, v13, v14
	v_fma_f32 v11, v15, v13, -v1
	v_fma_f32 v1, -v12, v15, v17
	v_fmac_f32_e32 v2, v16, v12
	v_fmac_f32_e32 v10, v12, v15
	;; [unrolled: 1-line block ×3, first 2 shown]
	ds_write_b64 v20, v[1:2] offset:128
	ds_write_b64 v9, v[10:11] offset:320
	s_and_saveexec_b64 s[2:3], vcc
	s_cbranch_execz .LBB0_32
; %bb.31:
	global_load_dwordx2 v[1:2], v[3:4], off offset:192
	ds_read_b64 v[3:4], v20 offset:192
	ds_read_b64 v[10:11], v9 offset:256
	s_waitcnt lgkmcnt(0)
	v_add_f32_e32 v6, v3, v10
	v_add_f32_e32 v12, v11, v4
	v_sub_f32_e32 v13, v3, v10
	v_sub_f32_e32 v4, v4, v11
	s_waitcnt vmcnt(0)
	v_fma_f32 v14, v13, v2, v6
	v_fma_f32 v3, v12, v2, v4
	v_fma_f32 v10, -v13, v2, v6
	v_fma_f32 v11, v12, v2, -v4
	v_fma_f32 v2, -v1, v12, v14
	v_fmac_f32_e32 v3, v13, v1
	v_fmac_f32_e32 v10, v1, v12
	v_fmac_f32_e32 v11, v13, v1
	ds_write_b64 v20, v[2:3] offset:192
	ds_write_b64 v9, v[10:11] offset:256
.LBB0_32:
	s_or_b64 exec, exec, s[2:3]
	v_lshlrev_b32_e32 v1, 3, v7
	v_add3_u32 v21, 0, v8, v1
	s_waitcnt lgkmcnt(0)
	s_barrier
	s_barrier
	ds_read2_b64 v[1:4], v21 offset0:8 offset1:16
	ds_read2_b64 v[6:9], v21 offset0:40 offset1:48
	s_mov_b32 s2, 0x3f3bfb3b
	s_mov_b32 s3, 0xbf3bfb3b
	v_cmp_eq_u32_e32 vcc, 7, v5
	s_waitcnt lgkmcnt(0)
	v_add_f32_e32 v10, v1, v8
	v_add_f32_e32 v11, v2, v9
	v_sub_f32_e32 v8, v1, v8
	v_sub_f32_e32 v9, v2, v9
	v_add_f32_e32 v12, v3, v6
	v_add_f32_e32 v13, v4, v7
	v_sub_f32_e32 v14, v3, v6
	v_sub_f32_e32 v15, v4, v7
	ds_read2_b64 v[1:4], v21 offset0:24 offset1:32
	ds_read_b64 v[6:7], v20
	v_sub_f32_e32 v22, v12, v10
	s_waitcnt lgkmcnt(0)
	s_barrier
	v_add_f32_e32 v16, v1, v3
	v_add_f32_e32 v17, v2, v4
	v_sub_f32_e32 v1, v3, v1
	v_sub_f32_e32 v2, v4, v2
	v_add_f32_e32 v3, v12, v10
	v_add_f32_e32 v4, v13, v11
	;; [unrolled: 1-line block ×4, first 2 shown]
	v_sub_f32_e32 v10, v10, v16
	v_sub_f32_e32 v12, v16, v12
	;; [unrolled: 1-line block ×5, first 2 shown]
	v_add_f32_e32 v17, v1, v14
	v_add_f32_e32 v6, v6, v3
	v_sub_f32_e32 v23, v1, v14
	v_sub_f32_e32 v1, v8, v1
	;; [unrolled: 1-line block ×3, first 2 shown]
	v_add_f32_e32 v8, v17, v8
	v_add_f32_e32 v17, v2, v15
	;; [unrolled: 1-line block ×3, first 2 shown]
	v_sub_f32_e32 v24, v2, v15
	v_sub_f32_e32 v2, v9, v2
	;; [unrolled: 1-line block ×3, first 2 shown]
	v_add_f32_e32 v9, v17, v9
	v_mov_b32_e32 v17, v6
	v_fmac_f32_e32 v17, 0xbf955555, v3
	v_mov_b32_e32 v3, v7
	v_fmac_f32_e32 v3, 0xbf955555, v4
	v_mul_f32_e32 v4, 0x3f4a47b2, v10
	v_mul_f32_e32 v10, 0x3d64c772, v12
	v_fma_f32 v10, v22, s2, -v10
	v_fma_f32 v22, v22, s3, -v4
	v_fmac_f32_e32 v4, 0x3d64c772, v12
	v_mul_f32_e32 v11, 0x3f4a47b2, v11
	v_mul_f32_e32 v12, 0x3d64c772, v13
	v_fma_f32 v12, v16, s2, -v12
	v_fma_f32 v16, v16, s3, -v11
	v_fmac_f32_e32 v11, 0x3d64c772, v13
	v_mul_f32_e32 v13, 0x3f08b237, v23
	s_mov_b32 s2, 0xbf5ff5aa
	v_mul_f32_e32 v23, 0xbf5ff5aa, v14
	s_mov_b32 s3, 0x3eae86e6
	v_fma_f32 v14, v14, s2, -v13
	v_fmac_f32_e32 v13, 0xbeae86e6, v1
	v_fma_f32 v23, v1, s3, -v23
	v_mul_f32_e32 v24, 0x3f08b237, v24
	v_mul_f32_e32 v1, 0xbf5ff5aa, v15
	v_fma_f32 v15, v15, s2, -v24
	v_fmac_f32_e32 v24, 0xbeae86e6, v2
	v_fma_f32 v25, v2, s3, -v1
	v_add_f32_e32 v4, v4, v17
	v_add_f32_e32 v1, v10, v17
	v_add_f32_e32 v10, v22, v17
	v_add_f32_e32 v22, v11, v3
	v_add_f32_e32 v2, v12, v3
	v_add_f32_e32 v3, v16, v3
	v_fmac_f32_e32 v13, 0xbee1c552, v8
	v_fmac_f32_e32 v24, 0xbee1c552, v9
	;; [unrolled: 1-line block ×6, first 2 shown]
	v_sub_f32_e32 v8, v1, v15
	v_add_f32_e32 v9, v14, v2
	v_add_f32_e32 v1, v15, v1
	v_sub_f32_e32 v2, v2, v14
	v_add_f32_e32 v14, v25, v10
	v_sub_f32_e32 v15, v3, v23
	v_sub_f32_e32 v10, v10, v25
	v_add_f32_e32 v11, v23, v3
	v_add_f32_e32 v16, v4, v24
	v_sub_f32_e32 v17, v22, v13
	v_sub_f32_e32 v3, v4, v24
	v_add_f32_e32 v4, v13, v22
	v_mad_u32_u24 v12, v5, 48, v21
	v_cmp_ne_u32_e64 s[2:3], 7, v5
	ds_write2_b64 v12, v[6:7], v[16:17] offset1:1
	ds_write2_b64 v12, v[14:15], v[8:9] offset0:2 offset1:3
	ds_write2_b64 v12, v[1:2], v[10:11] offset0:4 offset1:5
	ds_write_b64 v12, v[3:4] offset:48
	s_waitcnt lgkmcnt(0)
	s_barrier
	s_waitcnt lgkmcnt(0)
                                        ; implicit-def: $vgpr13
	s_and_saveexec_b64 s[4:5], s[2:3]
	s_cbranch_execz .LBB0_34
; %bb.33:
	ds_read2_b64 v[1:4], v21 offset0:35 offset1:42
	ds_read2_b64 v[22:25], v21 offset0:7 offset1:14
	;; [unrolled: 1-line block ×3, first 2 shown]
	ds_read_b64 v[6:7], v20
	ds_read_b64 v[12:13], v21 offset:392
	s_waitcnt lgkmcnt(4)
	v_mov_b32_e32 v11, v2
	v_mov_b32_e32 v10, v1
	s_waitcnt lgkmcnt(2)
	v_mov_b32_e32 v2, v17
	v_mov_b32_e32 v1, v16
	;; [unrolled: 1-line block ×8, first 2 shown]
.LBB0_34:
	s_or_b64 exec, exec, s[4:5]
	s_waitcnt lgkmcnt(0)
	s_barrier
	s_and_saveexec_b64 s[4:5], s[2:3]
	s_cbranch_execz .LBB0_36
; %bb.35:
	v_mul_u32_u24_e32 v5, 7, v5
	v_cndmask_b32_e64 v5, v5, 0, vcc
	v_lshlrev_b32_e32 v5, 3, v5
	global_load_dwordx4 v[22:25], v5, s[16:17]
	s_waitcnt vmcnt(0)
	v_mul_f32_e32 v27, v16, v23
	v_mul_f32_e32 v23, v17, v23
	;; [unrolled: 1-line block ×3, first 2 shown]
	v_fmac_f32_e32 v23, v16, v22
	v_mul_f32_e32 v16, v14, v25
	v_fma_f32 v27, v17, v22, -v27
	v_fmac_f32_e32 v26, v14, v24
	v_fma_f32 v22, v15, v24, -v16
	global_load_dwordx4 v[14:17], v5, s[16:17] offset:32
	s_waitcnt vmcnt(0)
	v_mul_f32_e32 v28, v11, v15
	v_mul_f32_e32 v24, v4, v17
	;; [unrolled: 1-line block ×3, first 2 shown]
	v_fmac_f32_e32 v28, v10, v14
	v_mul_f32_e32 v10, v3, v17
	v_fma_f32 v11, v11, v14, -v25
	v_fmac_f32_e32 v24, v3, v16
	v_fma_f32 v10, v4, v16, -v10
	global_load_dwordx4 v[14:17], v5, s[16:17] offset:16
	global_load_dwordx2 v[3:4], v5, s[16:17] offset:48
	v_sub_f32_e32 v10, v22, v10
	s_waitcnt vmcnt(1)
	v_mul_f32_e32 v25, v9, v15
	v_mul_f32_e32 v15, v8, v15
	;; [unrolled: 1-line block ×3, first 2 shown]
	s_waitcnt vmcnt(0)
	v_mul_f32_e32 v29, v13, v4
	v_fmac_f32_e32 v25, v8, v14
	v_fma_f32 v8, v9, v14, -v15
	v_mul_f32_e32 v4, v12, v4
	v_mul_f32_e32 v9, v2, v17
	v_fma_f32 v2, v2, v16, -v5
	v_fmac_f32_e32 v29, v12, v3
	v_fma_f32 v3, v13, v3, -v4
	v_fmac_f32_e32 v9, v1, v16
	v_sub_f32_e32 v4, v7, v2
	v_sub_f32_e32 v1, v26, v24
	;; [unrolled: 1-line block ×8, first 2 shown]
	v_add_f32_e32 v14, v11, v3
	v_add_f32_e32 v15, v9, v10
	v_fma_f32 v7, v7, 2.0, -v4
	v_fma_f32 v10, v22, 2.0, -v10
	;; [unrolled: 1-line block ×8, first 2 shown]
	v_sub_f32_e32 v13, v5, v2
	v_sub_f32_e32 v8, v7, v10
	;; [unrolled: 1-line block ×5, first 2 shown]
	v_fma_f32 v25, v4, 2.0, -v12
	v_fma_f32 v28, v9, 2.0, -v15
	v_mov_b32_e32 v2, v12
	v_mov_b32_e32 v1, v15
	v_fma_f32 v26, v5, 2.0, -v13
	v_fma_f32 v27, v11, 2.0, -v14
	v_mov_b32_e32 v6, v25
	v_mov_b32_e32 v5, v28
	v_fma_f32 v29, v7, 2.0, -v8
	v_fma_f32 v9, v23, 2.0, -v24
	;; [unrolled: 1-line block ×4, first 2 shown]
	v_fmac_f32_e32 v2, 0x3f3504f3, v13
	v_fmac_f32_e32 v1, 0x3f3504f3, v14
	v_sub_f32_e32 v4, v8, v10
	v_fmac_f32_e32 v6, 0xbf3504f3, v26
	v_fmac_f32_e32 v5, 0xbf3504f3, v27
	v_sub_f32_e32 v10, v29, v9
	v_sub_f32_e32 v9, v22, v11
	v_add_f32_e32 v3, v17, v24
	v_fmac_f32_e32 v2, 0xbf3504f3, v14
	v_fmac_f32_e32 v1, 0x3f3504f3, v13
	v_fmac_f32_e32 v6, 0xbf3504f3, v27
	v_fmac_f32_e32 v5, 0x3f3504f3, v26
	v_fma_f32 v14, v29, 2.0, -v10
	v_fma_f32 v13, v22, 2.0, -v9
	;; [unrolled: 1-line block ×8, first 2 shown]
	ds_write_b64 v20, v[13:14]
	ds_write2_b64 v21, v[15:16], v[7:8] offset0:7 offset1:14
	ds_write2_b64 v21, v[11:12], v[9:10] offset0:21 offset1:28
	;; [unrolled: 1-line block ×3, first 2 shown]
	ds_write_b64 v21, v[1:2] offset:392
.LBB0_36:
	s_or_b64 exec, exec, s[4:5]
	s_mul_i32 s2, s7, s24
	s_mul_hi_u32 s3, s6, s24
	s_add_i32 s2, s3, s2
	s_mul_i32 s3, s6, s24
	v_mov_b32_e32 v2, s2
	v_add_co_u32_e32 v1, vcc, s3, v19
	v_addc_co_u32_e32 v2, vcc, v2, v18, vcc
	s_mov_b64 s[2:3], -1
	s_and_b64 vcc, exec, s[0:1]
	s_waitcnt lgkmcnt(0)
	s_barrier
	s_cbranch_vccz .LBB0_38
; %bb.37:
	v_mul_u32_u24_e32 v3, 0x493, v0
	v_lshrrev_b32_e32 v10, 16, v3
	v_mul_lo_u16_e32 v3, 56, v10
	v_sub_u16_e32 v11, v0, v3
	v_mad_u64_u32 v[3:4], s[0:1], s8, v11, 0
	v_mad_u64_u32 v[5:6], s[0:1], s10, v10, 0
	v_mad_u64_u32 v[7:8], s[0:1], s9, v11, v[4:5]
	v_mov_b32_e32 v4, v6
	v_mad_u64_u32 v[8:9], s[0:1], s11, v10, v[4:5]
	v_mov_b32_e32 v4, v7
	v_mad_legacy_u16 v7, v10, 57, v11
	v_mov_b32_e32 v6, v8
	v_lshl_add_u32 v12, v7, 3, 0
	v_lshlrev_b64 v[7:8], 3, v[1:2]
	v_mov_b32_e32 v9, s15
	v_add_co_u32_e32 v19, vcc, s14, v7
	v_lshlrev_b64 v[3:4], 3, v[3:4]
	v_addc_co_u32_e32 v20, vcc, v9, v8, vcc
	v_add_co_u32_e32 v7, vcc, v19, v3
	s_movk_i32 s0, 0x493
	v_addc_co_u32_e32 v8, vcc, v20, v4, vcc
	v_lshlrev_b64 v[3:4], 3, v[5:6]
	v_or_b32_e32 v5, 0x80, v0
	v_mul_u32_u24_sdwa v6, v5, s0 dst_sel:DWORD dst_unused:UNUSED_PAD src0_sel:WORD_0 src1_sel:DWORD
	v_lshrrev_b32_e32 v13, 16, v6
	v_mul_lo_u16_e32 v6, 56, v13
	v_sub_u16_e32 v14, v5, v6
	v_add_co_u32_e32 v3, vcc, v7, v3
	v_mad_u64_u32 v[5:6], s[2:3], s8, v14, 0
	v_addc_co_u32_e32 v4, vcc, v8, v4, vcc
	v_mad_u64_u32 v[7:8], s[2:3], s10, v13, 0
	v_mad_u64_u32 v[9:10], s[2:3], s9, v14, v[6:7]
	v_mov_b32_e32 v6, v8
	v_mad_u64_u32 v[10:11], s[2:3], s11, v13, v[6:7]
	v_or_b32_e32 v8, 0x100, v0
	v_mul_u32_u24_sdwa v11, v8, s0 dst_sel:DWORD dst_unused:UNUSED_PAD src0_sel:WORD_0 src1_sel:DWORD
	v_lshrrev_b32_e32 v21, 16, v11
	v_mul_lo_u16_e32 v11, 56, v21
	v_sub_u16_e32 v22, v8, v11
	v_or_b32_e32 v11, 0x180, v0
	v_mad_legacy_u16 v6, v13, 57, v14
	v_mul_u32_u24_sdwa v13, v11, s0 dst_sel:DWORD dst_unused:UNUSED_PAD src0_sel:WORD_0 src1_sel:DWORD
	v_lshrrev_b32_e32 v23, 16, v13
	v_mul_lo_u16_e32 v13, 56, v23
	v_sub_u16_e32 v24, v11, v13
	ds_read_b64 v[11:12], v12
	v_mad_legacy_u16 v13, v23, 57, v24
	v_lshl_add_u32 v6, v6, 3, 0
	v_mad_legacy_u16 v8, v21, 57, v22
	v_lshl_add_u32 v17, v13, 3, 0
	v_lshl_add_u32 v8, v8, 3, 0
	ds_read_b64 v[13:14], v6
	ds_read_b64 v[15:16], v8
	;; [unrolled: 1-line block ×3, first 2 shown]
	v_mov_b32_e32 v6, v9
	s_waitcnt lgkmcnt(3)
	global_store_dwordx2 v[3:4], v[11:12], off
	v_lshlrev_b64 v[3:4], 3, v[5:6]
	v_mov_b32_e32 v8, v10
	v_add_co_u32_e32 v12, vcc, v19, v3
	v_addc_co_u32_e32 v25, vcc, v20, v4, vcc
	v_mad_u64_u32 v[3:4], s[2:3], s8, v22, 0
	v_lshlrev_b64 v[5:6], 3, v[7:8]
	v_mad_u64_u32 v[7:8], s[2:3], s10, v21, 0
	v_mad_u64_u32 v[9:10], s[2:3], s9, v22, v[4:5]
	v_mov_b32_e32 v4, v8
	v_mad_u64_u32 v[10:11], s[2:3], s11, v21, v[4:5]
	v_add_co_u32_e32 v4, vcc, v12, v5
	v_addc_co_u32_e32 v5, vcc, v25, v6, vcc
	s_waitcnt lgkmcnt(2)
	global_store_dwordx2 v[4:5], v[13:14], off
	v_mov_b32_e32 v4, v9
	v_lshlrev_b64 v[3:4], 3, v[3:4]
	v_mov_b32_e32 v8, v10
	v_add_co_u32_e32 v12, vcc, v19, v3
	v_addc_co_u32_e32 v13, vcc, v20, v4, vcc
	v_mad_u64_u32 v[3:4], s[2:3], s8, v24, 0
	v_lshlrev_b64 v[5:6], 3, v[7:8]
	v_mad_u64_u32 v[7:8], s[2:3], s10, v23, 0
	v_mad_u64_u32 v[9:10], s[2:3], s9, v24, v[4:5]
	v_mov_b32_e32 v4, v8
	v_mad_u64_u32 v[10:11], s[2:3], s11, v23, v[4:5]
	v_add_co_u32_e32 v4, vcc, v12, v5
	v_addc_co_u32_e32 v5, vcc, v13, v6, vcc
	s_waitcnt lgkmcnt(1)
	global_store_dwordx2 v[4:5], v[15:16], off
	v_mov_b32_e32 v4, v9
	v_lshlrev_b64 v[3:4], 3, v[3:4]
	v_mov_b32_e32 v8, v10
	v_add_co_u32_e32 v12, vcc, v19, v3
	v_or_b32_e32 v3, 0x200, v0
	v_addc_co_u32_e32 v13, vcc, v20, v4, vcc
	v_mul_u32_u24_sdwa v4, v3, s0 dst_sel:DWORD dst_unused:UNUSED_PAD src0_sel:WORD_0 src1_sel:DWORD
	v_lshrrev_b32_e32 v14, 16, v4
	v_mul_lo_u16_e32 v4, 56, v14
	v_sub_u16_e32 v15, v3, v4
	v_mad_u64_u32 v[3:4], s[2:3], s8, v15, 0
	v_lshlrev_b64 v[5:6], 3, v[7:8]
	v_mad_u64_u32 v[7:8], s[2:3], s10, v14, 0
	v_mad_u64_u32 v[9:10], s[2:3], s9, v15, v[4:5]
	v_mov_b32_e32 v4, v8
	v_mad_u64_u32 v[10:11], s[2:3], s11, v14, v[4:5]
	v_add_co_u32_e32 v4, vcc, v12, v5
	v_addc_co_u32_e32 v5, vcc, v13, v6, vcc
	s_waitcnt lgkmcnt(0)
	global_store_dwordx2 v[4:5], v[17:18], off
	v_mad_legacy_u16 v5, v14, 57, v15
	v_lshl_add_u32 v12, v5, 3, 0
	v_or_b32_e32 v5, 0x280, v0
	v_mov_b32_e32 v4, v9
	v_mul_u32_u24_sdwa v6, v5, s0 dst_sel:DWORD dst_unused:UNUSED_PAD src0_sel:WORD_0 src1_sel:DWORD
	v_lshlrev_b64 v[3:4], 3, v[3:4]
	v_lshrrev_b32_e32 v13, 16, v6
	v_mul_lo_u16_e32 v6, 56, v13
	v_mov_b32_e32 v8, v10
	v_add_co_u32_e32 v9, vcc, v19, v3
	v_sub_u16_e32 v14, v5, v6
	v_addc_co_u32_e32 v10, vcc, v20, v4, vcc
	v_lshlrev_b64 v[3:4], 3, v[7:8]
	v_mad_u64_u32 v[5:6], s[2:3], s8, v14, 0
	v_mad_u64_u32 v[7:8], s[2:3], s10, v13, 0
	v_add_co_u32_e32 v3, vcc, v9, v3
	v_addc_co_u32_e32 v4, vcc, v10, v4, vcc
	v_mad_u64_u32 v[9:10], s[2:3], s9, v14, v[6:7]
	v_mov_b32_e32 v6, v8
	v_mad_u64_u32 v[10:11], s[2:3], s11, v13, v[6:7]
	v_or_b32_e32 v8, 0x300, v0
	v_mul_u32_u24_sdwa v11, v8, s0 dst_sel:DWORD dst_unused:UNUSED_PAD src0_sel:WORD_0 src1_sel:DWORD
	v_lshrrev_b32_e32 v17, 16, v11
	v_mul_lo_u16_e32 v11, 56, v17
	v_sub_u16_e32 v18, v8, v11
	ds_read_b64 v[11:12], v12
	v_mad_legacy_u16 v6, v13, 57, v14
	v_lshl_add_u32 v6, v6, 3, 0
	v_mad_legacy_u16 v8, v17, 57, v18
	v_lshl_add_u32 v8, v8, 3, 0
	ds_read_b64 v[13:14], v6
	ds_read_b64 v[15:16], v8
	v_mov_b32_e32 v6, v9
	s_waitcnt lgkmcnt(2)
	global_store_dwordx2 v[3:4], v[11:12], off
	v_lshlrev_b64 v[3:4], 3, v[5:6]
	v_mov_b32_e32 v8, v10
	v_add_co_u32_e32 v12, vcc, v19, v3
	v_addc_co_u32_e32 v21, vcc, v20, v4, vcc
	v_mad_u64_u32 v[3:4], s[0:1], s8, v18, 0
	v_lshlrev_b64 v[5:6], 3, v[7:8]
	v_mad_u64_u32 v[7:8], s[0:1], s10, v17, 0
	v_mad_u64_u32 v[9:10], s[0:1], s9, v18, v[4:5]
	v_mov_b32_e32 v4, v8
	v_mad_u64_u32 v[10:11], s[0:1], s11, v17, v[4:5]
	v_add_co_u32_e32 v4, vcc, v12, v5
	v_addc_co_u32_e32 v5, vcc, v21, v6, vcc
	s_waitcnt lgkmcnt(1)
	global_store_dwordx2 v[4:5], v[13:14], off
	v_mov_b32_e32 v4, v9
	v_lshlrev_b64 v[3:4], 3, v[3:4]
	v_mov_b32_e32 v8, v10
	v_add_co_u32_e32 v5, vcc, v19, v3
	v_addc_co_u32_e32 v6, vcc, v20, v4, vcc
	v_lshlrev_b64 v[3:4], 3, v[7:8]
	s_mov_b64 s[2:3], 0
	v_add_co_u32_e32 v3, vcc, v5, v3
	v_addc_co_u32_e32 v4, vcc, v6, v4, vcc
	s_waitcnt lgkmcnt(0)
	global_store_dwordx2 v[3:4], v[15:16], off
.LBB0_38:
	s_andn2_b64 vcc, exec, s[2:3]
	s_cbranch_vccnz .LBB0_42
; %bb.39:
	s_movk_i32 s0, 0x380
	v_cmp_gt_u32_e32 vcc, s0, v0
	s_and_saveexec_b64 s[0:1], vcc
	s_cbranch_execz .LBB0_42
; %bb.40:
	v_lshlrev_b64 v[1:2], 3, v[1:2]
	v_mov_b32_e32 v3, s15
	v_add_co_u32_e32 v1, vcc, s14, v1
	v_addc_co_u32_e32 v2, vcc, v3, v2, vcc
	s_mov_b64 s[0:1], 0
	s_movk_i32 s2, 0x37f
.LBB0_41:                               ; =>This Inner Loop Header: Depth=1
	v_lshrrev_b16_e32 v3, 3, v0
	v_mul_u32_u24_e32 v3, 0x2493, v3
	v_lshrrev_b32_e32 v9, 16, v3
	v_mul_lo_u16_e32 v5, 56, v9
	v_sub_u16_e32 v11, v0, v5
	v_mad_u64_u32 v[3:4], s[4:5], s10, v9, 0
	v_mad_u64_u32 v[5:6], s[4:5], s8, v11, 0
	v_mad_legacy_u16 v7, v9, 57, v11
	v_add_u32_e32 v0, 0x80, v0
	v_mad_u64_u32 v[9:10], s[4:5], s11, v9, v[4:5]
	v_mov_b32_e32 v4, v6
	v_mad_u64_u32 v[10:11], s[4:5], s9, v11, v[4:5]
	v_lshl_add_u32 v7, v7, 3, 0
	v_cmp_lt_u32_e32 vcc, s2, v0
	v_mov_b32_e32 v6, v10
	v_lshlrev_b64 v[5:6], 3, v[5:6]
	ds_read_b64 v[7:8], v7
	v_mov_b32_e32 v4, v9
	s_or_b64 s[0:1], vcc, s[0:1]
	v_lshlrev_b64 v[3:4], 3, v[3:4]
	v_add_co_u32_e32 v5, vcc, v1, v5
	v_addc_co_u32_e32 v6, vcc, v2, v6, vcc
	v_add_co_u32_e32 v3, vcc, v5, v3
	v_addc_co_u32_e32 v4, vcc, v6, v4, vcc
	s_waitcnt lgkmcnt(0)
	global_store_dwordx2 v[3:4], v[7:8], off
	s_andn2_b64 exec, exec, s[0:1]
	s_cbranch_execnz .LBB0_41
.LBB0_42:
	s_endpgm
.LBB0_43:
                                        ; implicit-def: $vgpr2_vgpr3
	s_branch .LBB0_19
	.section	.rodata,"a",@progbits
	.p2align	6, 0x0
	.amdhsa_kernel fft_rtc_back_len56_factors_7_8_wgs_128_tpt_8_sp_op_CI_CI_sbcr_C2R
		.amdhsa_group_segment_fixed_size 0
		.amdhsa_private_segment_fixed_size 0
		.amdhsa_kernarg_size 104
		.amdhsa_user_sgpr_count 6
		.amdhsa_user_sgpr_private_segment_buffer 1
		.amdhsa_user_sgpr_dispatch_ptr 0
		.amdhsa_user_sgpr_queue_ptr 0
		.amdhsa_user_sgpr_kernarg_segment_ptr 1
		.amdhsa_user_sgpr_dispatch_id 0
		.amdhsa_user_sgpr_flat_scratch_init 0
		.amdhsa_user_sgpr_private_segment_size 0
		.amdhsa_uses_dynamic_stack 0
		.amdhsa_system_sgpr_private_segment_wavefront_offset 0
		.amdhsa_system_sgpr_workgroup_id_x 1
		.amdhsa_system_sgpr_workgroup_id_y 0
		.amdhsa_system_sgpr_workgroup_id_z 0
		.amdhsa_system_sgpr_workgroup_info 0
		.amdhsa_system_vgpr_workitem_id 0
		.amdhsa_next_free_vgpr 30
		.amdhsa_next_free_sgpr 51
		.amdhsa_reserve_vcc 1
		.amdhsa_reserve_flat_scratch 0
		.amdhsa_float_round_mode_32 0
		.amdhsa_float_round_mode_16_64 0
		.amdhsa_float_denorm_mode_32 3
		.amdhsa_float_denorm_mode_16_64 3
		.amdhsa_dx10_clamp 1
		.amdhsa_ieee_mode 1
		.amdhsa_fp16_overflow 0
		.amdhsa_exception_fp_ieee_invalid_op 0
		.amdhsa_exception_fp_denorm_src 0
		.amdhsa_exception_fp_ieee_div_zero 0
		.amdhsa_exception_fp_ieee_overflow 0
		.amdhsa_exception_fp_ieee_underflow 0
		.amdhsa_exception_fp_ieee_inexact 0
		.amdhsa_exception_int_div_zero 0
	.end_amdhsa_kernel
	.text
.Lfunc_end0:
	.size	fft_rtc_back_len56_factors_7_8_wgs_128_tpt_8_sp_op_CI_CI_sbcr_C2R, .Lfunc_end0-fft_rtc_back_len56_factors_7_8_wgs_128_tpt_8_sp_op_CI_CI_sbcr_C2R
                                        ; -- End function
	.section	.AMDGPU.csdata,"",@progbits
; Kernel info:
; codeLenInByte = 6432
; NumSgprs: 55
; NumVgprs: 30
; ScratchSize: 0
; MemoryBound: 0
; FloatMode: 240
; IeeeMode: 1
; LDSByteSize: 0 bytes/workgroup (compile time only)
; SGPRBlocks: 6
; VGPRBlocks: 7
; NumSGPRsForWavesPerEU: 55
; NumVGPRsForWavesPerEU: 30
; Occupancy: 8
; WaveLimiterHint : 1
; COMPUTE_PGM_RSRC2:SCRATCH_EN: 0
; COMPUTE_PGM_RSRC2:USER_SGPR: 6
; COMPUTE_PGM_RSRC2:TRAP_HANDLER: 0
; COMPUTE_PGM_RSRC2:TGID_X_EN: 1
; COMPUTE_PGM_RSRC2:TGID_Y_EN: 0
; COMPUTE_PGM_RSRC2:TGID_Z_EN: 0
; COMPUTE_PGM_RSRC2:TIDIG_COMP_CNT: 0
	.type	__hip_cuid_ed206786193a9130,@object ; @__hip_cuid_ed206786193a9130
	.section	.bss,"aw",@nobits
	.globl	__hip_cuid_ed206786193a9130
__hip_cuid_ed206786193a9130:
	.byte	0                               ; 0x0
	.size	__hip_cuid_ed206786193a9130, 1

	.ident	"AMD clang version 19.0.0git (https://github.com/RadeonOpenCompute/llvm-project roc-6.4.0 25133 c7fe45cf4b819c5991fe208aaa96edf142730f1d)"
	.section	".note.GNU-stack","",@progbits
	.addrsig
	.addrsig_sym __hip_cuid_ed206786193a9130
	.amdgpu_metadata
---
amdhsa.kernels:
  - .args:
      - .actual_access:  read_only
        .address_space:  global
        .offset:         0
        .size:           8
        .value_kind:     global_buffer
      - .offset:         8
        .size:           8
        .value_kind:     by_value
      - .actual_access:  read_only
        .address_space:  global
        .offset:         16
        .size:           8
        .value_kind:     global_buffer
      - .actual_access:  read_only
        .address_space:  global
        .offset:         24
        .size:           8
        .value_kind:     global_buffer
      - .actual_access:  read_only
        .address_space:  global
        .offset:         32
        .size:           8
        .value_kind:     global_buffer
      - .offset:         40
        .size:           8
        .value_kind:     by_value
      - .actual_access:  read_only
        .address_space:  global
        .offset:         48
        .size:           8
        .value_kind:     global_buffer
      - .actual_access:  read_only
        .address_space:  global
        .offset:         56
        .size:           8
        .value_kind:     global_buffer
      - .offset:         64
        .size:           4
        .value_kind:     by_value
      - .actual_access:  read_only
        .address_space:  global
        .offset:         72
        .size:           8
        .value_kind:     global_buffer
      - .actual_access:  read_only
        .address_space:  global
        .offset:         80
        .size:           8
        .value_kind:     global_buffer
      - .actual_access:  read_only
        .address_space:  global
        .offset:         88
        .size:           8
        .value_kind:     global_buffer
      - .actual_access:  write_only
        .address_space:  global
        .offset:         96
        .size:           8
        .value_kind:     global_buffer
    .group_segment_fixed_size: 0
    .kernarg_segment_align: 8
    .kernarg_segment_size: 104
    .language:       OpenCL C
    .language_version:
      - 2
      - 0
    .max_flat_workgroup_size: 128
    .name:           fft_rtc_back_len56_factors_7_8_wgs_128_tpt_8_sp_op_CI_CI_sbcr_C2R
    .private_segment_fixed_size: 0
    .sgpr_count:     55
    .sgpr_spill_count: 0
    .symbol:         fft_rtc_back_len56_factors_7_8_wgs_128_tpt_8_sp_op_CI_CI_sbcr_C2R.kd
    .uniform_work_group_size: 1
    .uses_dynamic_stack: false
    .vgpr_count:     30
    .vgpr_spill_count: 0
    .wavefront_size: 64
amdhsa.target:   amdgcn-amd-amdhsa--gfx906
amdhsa.version:
  - 1
  - 2
...

	.end_amdgpu_metadata
